;; amdgpu-corpus repo=ROCm/rocFFT kind=compiled arch=gfx90a opt=O3
	.text
	.amdgcn_target "amdgcn-amd-amdhsa--gfx90a"
	.amdhsa_code_object_version 6
	.protected	fft_rtc_back_len1280_factors_16_5_16_wgs_80_tpt_80_halfLds_dp_op_CI_CI_sbrr_dirReg ; -- Begin function fft_rtc_back_len1280_factors_16_5_16_wgs_80_tpt_80_halfLds_dp_op_CI_CI_sbrr_dirReg
	.globl	fft_rtc_back_len1280_factors_16_5_16_wgs_80_tpt_80_halfLds_dp_op_CI_CI_sbrr_dirReg
	.p2align	8
	.type	fft_rtc_back_len1280_factors_16_5_16_wgs_80_tpt_80_halfLds_dp_op_CI_CI_sbrr_dirReg,@function
fft_rtc_back_len1280_factors_16_5_16_wgs_80_tpt_80_halfLds_dp_op_CI_CI_sbrr_dirReg: ; @fft_rtc_back_len1280_factors_16_5_16_wgs_80_tpt_80_halfLds_dp_op_CI_CI_sbrr_dirReg
; %bb.0:
	s_load_dwordx4 s[16:19], s[4:5], 0x18
	s_load_dwordx4 s[12:15], s[4:5], 0x0
	;; [unrolled: 1-line block ×3, first 2 shown]
	v_mul_u32_u24_e32 v1, 0x334, v0
	v_mov_b32_e32 v2, 0
	s_waitcnt lgkmcnt(0)
	s_load_dwordx2 s[20:21], s[16:17], 0x0
	s_load_dwordx2 s[2:3], s[18:19], 0x0
	v_cmp_lt_u64_e64 s[0:1], s[14:15], 2
	v_add_u32_sdwa v6, s6, v1 dst_sel:DWORD dst_unused:UNUSED_PAD src0_sel:DWORD src1_sel:WORD_1
	v_mov_b32_e32 v7, v2
	s_and_b64 vcc, exec, s[0:1]
	v_pk_mov_b32 v[4:5], 0, 0
	s_cbranch_vccnz .LBB0_8
; %bb.1:
	s_load_dwordx2 s[0:1], s[4:5], 0x10
	s_add_u32 s6, s18, 8
	s_addc_u32 s7, s19, 0
	s_add_u32 s22, s16, 8
	s_addc_u32 s23, s17, 0
	s_waitcnt lgkmcnt(0)
	s_add_u32 s24, s0, 8
	v_pk_mov_b32 v[4:5], 0, 0
	s_addc_u32 s25, s1, 0
	s_mov_b64 s[26:27], 1
	v_pk_mov_b32 v[72:73], v[4:5], v[4:5] op_sel:[0,1]
.LBB0_2:                                ; =>This Inner Loop Header: Depth=1
	s_load_dwordx2 s[28:29], s[24:25], 0x0
                                        ; implicit-def: $vgpr74_vgpr75
	s_waitcnt lgkmcnt(0)
	v_or_b32_e32 v3, s29, v7
	v_cmp_ne_u64_e32 vcc, 0, v[2:3]
	s_and_saveexec_b64 s[0:1], vcc
	s_xor_b64 s[30:31], exec, s[0:1]
	s_cbranch_execz .LBB0_4
; %bb.3:                                ;   in Loop: Header=BB0_2 Depth=1
	v_cvt_f32_u32_e32 v1, s28
	v_cvt_f32_u32_e32 v3, s29
	s_sub_u32 s0, 0, s28
	s_subb_u32 s1, 0, s29
	v_mac_f32_e32 v1, 0x4f800000, v3
	v_rcp_f32_e32 v1, v1
	v_mul_f32_e32 v1, 0x5f7ffffc, v1
	v_mul_f32_e32 v3, 0x2f800000, v1
	v_trunc_f32_e32 v3, v3
	v_mac_f32_e32 v1, 0xcf800000, v3
	v_cvt_u32_f32_e32 v3, v3
	v_cvt_u32_f32_e32 v1, v1
	v_mul_lo_u32 v8, s0, v3
	v_mul_hi_u32 v10, s0, v1
	v_mul_lo_u32 v9, s1, v1
	v_add_u32_e32 v8, v10, v8
	v_mul_lo_u32 v11, s0, v1
	v_add_u32_e32 v8, v8, v9
	v_mul_hi_u32 v10, v1, v11
	v_mul_lo_u32 v12, v1, v8
	v_mul_hi_u32 v9, v1, v8
	v_add_co_u32_e32 v10, vcc, v10, v12
	v_addc_co_u32_e32 v9, vcc, 0, v9, vcc
	v_mul_hi_u32 v13, v3, v11
	v_mul_lo_u32 v11, v3, v11
	v_add_co_u32_e32 v10, vcc, v10, v11
	v_mul_hi_u32 v12, v3, v8
	v_addc_co_u32_e32 v9, vcc, v9, v13, vcc
	v_addc_co_u32_e32 v10, vcc, 0, v12, vcc
	v_mul_lo_u32 v8, v3, v8
	v_add_co_u32_e32 v8, vcc, v9, v8
	v_addc_co_u32_e32 v9, vcc, 0, v10, vcc
	v_add_co_u32_e32 v1, vcc, v1, v8
	v_addc_co_u32_e32 v3, vcc, v3, v9, vcc
	v_mul_lo_u32 v8, s0, v3
	v_mul_hi_u32 v9, s0, v1
	v_add_u32_e32 v8, v9, v8
	v_mul_lo_u32 v9, s1, v1
	v_add_u32_e32 v8, v8, v9
	v_mul_lo_u32 v10, s0, v1
	v_mul_hi_u32 v11, v3, v10
	v_mul_lo_u32 v12, v3, v10
	v_mul_lo_u32 v14, v1, v8
	v_mul_hi_u32 v10, v1, v10
	v_mul_hi_u32 v13, v1, v8
	v_add_co_u32_e32 v10, vcc, v10, v14
	v_addc_co_u32_e32 v13, vcc, 0, v13, vcc
	v_add_co_u32_e32 v10, vcc, v10, v12
	v_mul_hi_u32 v9, v3, v8
	v_addc_co_u32_e32 v10, vcc, v13, v11, vcc
	v_addc_co_u32_e32 v9, vcc, 0, v9, vcc
	v_mul_lo_u32 v8, v3, v8
	v_add_co_u32_e32 v8, vcc, v10, v8
	v_addc_co_u32_e32 v9, vcc, 0, v9, vcc
	v_add_co_u32_e32 v1, vcc, v1, v8
	v_addc_co_u32_e32 v3, vcc, v3, v9, vcc
	v_mad_u64_u32 v[8:9], s[0:1], v6, v3, 0
	v_mul_hi_u32 v10, v6, v1
	v_add_co_u32_e32 v12, vcc, v10, v8
	v_addc_co_u32_e32 v13, vcc, 0, v9, vcc
	v_mad_u64_u32 v[10:11], s[0:1], v7, v1, 0
	v_add_co_u32_e32 v1, vcc, v12, v10
	v_mad_u64_u32 v[8:9], s[0:1], v7, v3, 0
	v_addc_co_u32_e32 v1, vcc, v13, v11, vcc
	v_addc_co_u32_e32 v3, vcc, 0, v9, vcc
	v_add_co_u32_e32 v1, vcc, v1, v8
	v_addc_co_u32_e32 v3, vcc, 0, v3, vcc
	v_mul_lo_u32 v10, s29, v1
	v_mul_lo_u32 v11, s28, v3
	v_mad_u64_u32 v[8:9], s[0:1], s28, v1, 0
	v_add3_u32 v9, v9, v11, v10
	v_sub_u32_e32 v10, v7, v9
	v_mov_b32_e32 v11, s29
	v_sub_co_u32_e32 v8, vcc, v6, v8
	v_subb_co_u32_e64 v10, s[0:1], v10, v11, vcc
	v_subrev_co_u32_e64 v11, s[0:1], s28, v8
	v_subbrev_co_u32_e64 v10, s[0:1], 0, v10, s[0:1]
	v_cmp_le_u32_e64 s[0:1], s29, v10
	v_cndmask_b32_e64 v12, 0, -1, s[0:1]
	v_cmp_le_u32_e64 s[0:1], s28, v11
	v_cndmask_b32_e64 v11, 0, -1, s[0:1]
	v_cmp_eq_u32_e64 s[0:1], s29, v10
	v_cndmask_b32_e64 v10, v12, v11, s[0:1]
	v_add_co_u32_e64 v11, s[0:1], 2, v1
	v_addc_co_u32_e64 v12, s[0:1], 0, v3, s[0:1]
	v_add_co_u32_e64 v13, s[0:1], 1, v1
	v_addc_co_u32_e64 v14, s[0:1], 0, v3, s[0:1]
	v_subb_co_u32_e32 v9, vcc, v7, v9, vcc
	v_cmp_ne_u32_e64 s[0:1], 0, v10
	v_cmp_le_u32_e32 vcc, s29, v9
	v_cndmask_b32_e64 v10, v14, v12, s[0:1]
	v_cndmask_b32_e64 v12, 0, -1, vcc
	v_cmp_le_u32_e32 vcc, s28, v8
	v_cndmask_b32_e64 v8, 0, -1, vcc
	v_cmp_eq_u32_e32 vcc, s29, v9
	v_cndmask_b32_e32 v8, v12, v8, vcc
	v_cmp_ne_u32_e32 vcc, 0, v8
	v_cndmask_b32_e32 v75, v3, v10, vcc
	v_cndmask_b32_e64 v3, v13, v11, s[0:1]
	v_cndmask_b32_e32 v74, v1, v3, vcc
.LBB0_4:                                ;   in Loop: Header=BB0_2 Depth=1
	s_andn2_saveexec_b64 s[0:1], s[30:31]
	s_cbranch_execz .LBB0_6
; %bb.5:                                ;   in Loop: Header=BB0_2 Depth=1
	v_cvt_f32_u32_e32 v1, s28
	s_sub_i32 s30, 0, s28
	v_mov_b32_e32 v75, v2
	v_rcp_iflag_f32_e32 v1, v1
	v_mul_f32_e32 v1, 0x4f7ffffe, v1
	v_cvt_u32_f32_e32 v1, v1
	v_mul_lo_u32 v3, s30, v1
	v_mul_hi_u32 v3, v1, v3
	v_add_u32_e32 v1, v1, v3
	v_mul_hi_u32 v1, v6, v1
	v_mul_lo_u32 v3, v1, s28
	v_sub_u32_e32 v3, v6, v3
	v_add_u32_e32 v8, 1, v1
	v_subrev_u32_e32 v9, s28, v3
	v_cmp_le_u32_e32 vcc, s28, v3
	v_cndmask_b32_e32 v3, v3, v9, vcc
	v_cndmask_b32_e32 v1, v1, v8, vcc
	v_add_u32_e32 v8, 1, v1
	v_cmp_le_u32_e32 vcc, s28, v3
	v_cndmask_b32_e32 v74, v1, v8, vcc
.LBB0_6:                                ;   in Loop: Header=BB0_2 Depth=1
	s_or_b64 exec, exec, s[0:1]
	v_mad_u64_u32 v[8:9], s[0:1], v74, s28, 0
	s_load_dwordx2 s[0:1], s[22:23], 0x0
	v_mul_lo_u32 v1, v75, s28
	v_mul_lo_u32 v3, v74, s29
	s_load_dwordx2 s[28:29], s[6:7], 0x0
	s_add_u32 s26, s26, 1
	v_add3_u32 v1, v9, v3, v1
	v_sub_co_u32_e32 v3, vcc, v6, v8
	s_addc_u32 s27, s27, 0
	v_subb_co_u32_e32 v1, vcc, v7, v1, vcc
	s_add_u32 s6, s6, 8
	s_waitcnt lgkmcnt(0)
	v_mul_lo_u32 v6, s0, v1
	v_mul_lo_u32 v7, s1, v3
	v_mad_u64_u32 v[4:5], s[0:1], s0, v3, v[4:5]
	s_addc_u32 s7, s7, 0
	v_add3_u32 v5, v7, v5, v6
	v_mul_lo_u32 v1, s28, v1
	v_mul_lo_u32 v6, s29, v3
	v_mad_u64_u32 v[72:73], s[0:1], s28, v3, v[72:73]
	s_add_u32 s22, s22, 8
	v_add3_u32 v73, v6, v73, v1
	s_addc_u32 s23, s23, 0
	v_pk_mov_b32 v[6:7], s[14:15], s[14:15] op_sel:[0,1]
	s_add_u32 s24, s24, 8
	v_cmp_ge_u64_e32 vcc, s[26:27], v[6:7]
	s_addc_u32 s25, s25, 0
	s_cbranch_vccnz .LBB0_9
; %bb.7:                                ;   in Loop: Header=BB0_2 Depth=1
	v_pk_mov_b32 v[6:7], v[74:75], v[74:75] op_sel:[0,1]
	s_branch .LBB0_2
.LBB0_8:
	v_pk_mov_b32 v[72:73], v[4:5], v[4:5] op_sel:[0,1]
	v_pk_mov_b32 v[74:75], v[6:7], v[6:7] op_sel:[0,1]
.LBB0_9:
	s_load_dwordx2 s[0:1], s[4:5], 0x28
	s_lshl_b64 s[14:15], s[14:15], 3
	s_add_u32 s4, s18, s14
	s_addc_u32 s5, s19, s15
                                        ; implicit-def: $sgpr18
                                        ; implicit-def: $vgpr103
                                        ; implicit-def: $vgpr104
                                        ; implicit-def: $vgpr105
                                        ; implicit-def: $vgpr100
	s_waitcnt lgkmcnt(0)
	v_cmp_gt_u64_e32 vcc, s[0:1], v[74:75]
	v_cmp_le_u64_e64 s[0:1], s[0:1], v[74:75]
	s_and_saveexec_b64 s[6:7], s[0:1]
	s_xor_b64 s[0:1], exec, s[6:7]
; %bb.10:
	s_mov_b32 s6, 0x3333334
	v_mul_hi_u32 v1, v0, s6
	v_mul_u32_u24_e32 v1, 0x50, v1
	v_sub_u32_e32 v103, v0, v1
	v_add_u32_e32 v104, 0x50, v103
	v_add_u32_e32 v105, 0xa0, v103
	;; [unrolled: 1-line block ×3, first 2 shown]
	s_mov_b32 s18, 0
                                        ; implicit-def: $vgpr0
                                        ; implicit-def: $vgpr4_vgpr5
; %bb.11:
	s_or_saveexec_b64 s[6:7], s[0:1]
	v_mov_b32_e32 v102, s18
                                        ; implicit-def: $vgpr2_vgpr3
                                        ; implicit-def: $vgpr22_vgpr23
                                        ; implicit-def: $vgpr10_vgpr11
                                        ; implicit-def: $vgpr14_vgpr15
                                        ; implicit-def: $vgpr26_vgpr27
                                        ; implicit-def: $vgpr30_vgpr31
                                        ; implicit-def: $vgpr18_vgpr19
                                        ; implicit-def: $vgpr54_vgpr55
                                        ; implicit-def: $vgpr42_vgpr43
                                        ; implicit-def: $vgpr62_vgpr63
                                        ; implicit-def: $vgpr50_vgpr51
                                        ; implicit-def: $vgpr58_vgpr59
                                        ; implicit-def: $vgpr46_vgpr47
                                        ; implicit-def: $vgpr38_vgpr39
                                        ; implicit-def: $vgpr34_vgpr35
                                        ; implicit-def: $vgpr6_vgpr7
	s_xor_b64 exec, exec, s[6:7]
	s_cbranch_execz .LBB0_13
; %bb.12:
	s_add_u32 s0, s16, s14
	s_addc_u32 s1, s17, s15
	s_load_dwordx2 s[0:1], s[0:1], 0x0
	s_mov_b32 s14, 0x3333334
	s_waitcnt lgkmcnt(0)
	v_mul_lo_u32 v1, s1, v74
	v_mul_lo_u32 v6, s0, v75
	v_mad_u64_u32 v[2:3], s[0:1], s0, v74, 0
	v_add3_u32 v3, v3, v6, v1
	v_mul_hi_u32 v1, v0, s14
	v_mul_u32_u24_e32 v1, 0x50, v1
	v_sub_u32_e32 v103, v0, v1
	v_mad_u64_u32 v[0:1], s[0:1], s20, v103, 0
	v_mov_b32_e32 v6, v1
	v_mad_u64_u32 v[6:7], s[0:1], s21, v103, v[6:7]
	v_lshlrev_b64 v[2:3], 4, v[2:3]
	v_mov_b32_e32 v1, v6
	v_mov_b32_e32 v6, s9
	v_add_co_u32_e64 v7, s[0:1], s8, v2
	v_addc_co_u32_e64 v6, s[0:1], v6, v3, s[0:1]
	v_lshlrev_b64 v[2:3], 4, v[4:5]
	v_add_co_u32_e64 v36, s[0:1], v7, v2
	v_addc_co_u32_e64 v37, s[0:1], v6, v3, s[0:1]
	v_lshlrev_b64 v[0:1], 4, v[0:1]
	v_add_co_u32_e64 v8, s[0:1], v36, v0
	v_add_u32_e32 v104, 0x50, v103
	v_addc_co_u32_e64 v9, s[0:1], v37, v1, s[0:1]
	v_mad_u64_u32 v[0:1], s[0:1], s20, v104, 0
	v_mov_b32_e32 v2, v1
	v_mad_u64_u32 v[2:3], s[0:1], s21, v104, v[2:3]
	v_mov_b32_e32 v1, v2
	v_lshlrev_b64 v[0:1], 4, v[0:1]
	v_add_co_u32_e64 v10, s[0:1], v36, v0
	v_add_u32_e32 v105, 0xa0, v103
	v_addc_co_u32_e64 v11, s[0:1], v37, v1, s[0:1]
	global_load_dwordx4 v[4:7], v[8:9], off
	global_load_dwordx4 v[0:3], v[10:11], off
	v_mad_u64_u32 v[8:9], s[0:1], s20, v105, 0
	v_mov_b32_e32 v10, v9
	v_mad_u64_u32 v[10:11], s[0:1], s21, v105, v[10:11]
	v_mov_b32_e32 v9, v10
	v_lshlrev_b64 v[8:9], 4, v[8:9]
	v_add_co_u32_e64 v12, s[0:1], v36, v8
	v_add_u32_e32 v100, 0xf0, v103
	v_addc_co_u32_e64 v13, s[0:1], v37, v9, s[0:1]
	v_mad_u64_u32 v[8:9], s[0:1], s20, v100, 0
	v_mov_b32_e32 v10, v9
	v_mad_u64_u32 v[10:11], s[0:1], s21, v100, v[10:11]
	v_mov_b32_e32 v9, v10
	v_lshlrev_b64 v[8:9], 4, v[8:9]
	v_add_co_u32_e64 v14, s[0:1], v36, v8
	v_addc_co_u32_e64 v15, s[0:1], v37, v9, s[0:1]
	global_load_dwordx4 v[20:23], v[12:13], off
	global_load_dwordx4 v[8:11], v[14:15], off
	v_add_u32_e32 v15, 0x140, v103
	v_mad_u64_u32 v[12:13], s[0:1], s20, v15, 0
	v_mov_b32_e32 v14, v13
	v_mad_u64_u32 v[14:15], s[0:1], s21, v15, v[14:15]
	v_mov_b32_e32 v13, v14
	v_lshlrev_b64 v[12:13], 4, v[12:13]
	v_add_co_u32_e64 v16, s[0:1], v36, v12
	v_add_u32_e32 v15, 0x190, v103
	v_addc_co_u32_e64 v17, s[0:1], v37, v13, s[0:1]
	v_mad_u64_u32 v[12:13], s[0:1], s20, v15, 0
	v_mov_b32_e32 v14, v13
	v_mad_u64_u32 v[14:15], s[0:1], s21, v15, v[14:15]
	v_mov_b32_e32 v13, v14
	v_lshlrev_b64 v[12:13], 4, v[12:13]
	v_add_co_u32_e64 v18, s[0:1], v36, v12
	v_addc_co_u32_e64 v19, s[0:1], v37, v13, s[0:1]
	global_load_dwordx4 v[12:15], v[16:17], off
	global_load_dwordx4 v[24:27], v[18:19], off
	v_add_u32_e32 v19, 0x1e0, v103
	v_mad_u64_u32 v[16:17], s[0:1], s20, v19, 0
	v_mov_b32_e32 v18, v17
	v_mad_u64_u32 v[18:19], s[0:1], s21, v19, v[18:19]
	v_mov_b32_e32 v17, v18
	v_lshlrev_b64 v[16:17], 4, v[16:17]
	v_add_co_u32_e64 v16, s[0:1], v36, v16
	v_add_u32_e32 v29, 0x230, v103
	v_addc_co_u32_e64 v17, s[0:1], v37, v17, s[0:1]
	v_mad_u64_u32 v[18:19], s[0:1], s20, v29, 0
	v_mov_b32_e32 v28, v19
	v_mad_u64_u32 v[28:29], s[0:1], s21, v29, v[28:29]
	v_mov_b32_e32 v19, v28
	v_lshlrev_b64 v[18:19], 4, v[18:19]
	v_add_co_u32_e64 v18, s[0:1], v36, v18
	v_addc_co_u32_e64 v19, s[0:1], v37, v19, s[0:1]
	global_load_dwordx4 v[32:35], v[16:17], off
	global_load_dwordx4 v[28:31], v[18:19], off
	v_or_b32_e32 v19, 0x280, v103
	v_mad_u64_u32 v[16:17], s[0:1], s20, v19, 0
	v_mov_b32_e32 v18, v17
	v_mad_u64_u32 v[18:19], s[0:1], s21, v19, v[18:19]
	v_mov_b32_e32 v17, v18
	v_lshlrev_b64 v[16:17], 4, v[16:17]
	v_add_co_u32_e64 v64, s[0:1], v36, v16
	v_add_u32_e32 v19, 0x2d0, v103
	v_addc_co_u32_e64 v65, s[0:1], v37, v17, s[0:1]
	v_mad_u64_u32 v[16:17], s[0:1], s20, v19, 0
	v_mov_b32_e32 v18, v17
	v_mad_u64_u32 v[18:19], s[0:1], s21, v19, v[18:19]
	v_mov_b32_e32 v17, v18
	v_lshlrev_b64 v[16:17], 4, v[16:17]
	v_add_co_u32_e64 v66, s[0:1], v36, v16
	v_add_u32_e32 v19, 0x320, v103
	v_addc_co_u32_e64 v67, s[0:1], v37, v17, s[0:1]
	v_mad_u64_u32 v[16:17], s[0:1], s20, v19, 0
	v_mov_b32_e32 v18, v17
	v_mad_u64_u32 v[18:19], s[0:1], s21, v19, v[18:19]
	v_mov_b32_e32 v17, v18
	v_lshlrev_b64 v[16:17], 4, v[16:17]
	v_add_co_u32_e64 v68, s[0:1], v36, v16
	v_add_u32_e32 v19, 0x370, v103
	v_addc_co_u32_e64 v69, s[0:1], v37, v17, s[0:1]
	v_mad_u64_u32 v[16:17], s[0:1], s20, v19, 0
	v_mov_b32_e32 v18, v17
	v_mad_u64_u32 v[18:19], s[0:1], s21, v19, v[18:19]
	v_mov_b32_e32 v17, v18
	v_lshlrev_b64 v[16:17], 4, v[16:17]
	v_add_co_u32_e64 v70, s[0:1], v36, v16
	v_add_u32_e32 v19, 0x3c0, v103
	v_addc_co_u32_e64 v71, s[0:1], v37, v17, s[0:1]
	v_mad_u64_u32 v[16:17], s[0:1], s20, v19, 0
	v_mov_b32_e32 v18, v17
	v_mad_u64_u32 v[18:19], s[0:1], s21, v19, v[18:19]
	v_mov_b32_e32 v17, v18
	v_lshlrev_b64 v[16:17], 4, v[16:17]
	v_add_co_u32_e64 v76, s[0:1], v36, v16
	v_add_u32_e32 v19, 0x410, v103
	v_addc_co_u32_e64 v77, s[0:1], v37, v17, s[0:1]
	v_mad_u64_u32 v[16:17], s[0:1], s20, v19, 0
	v_mov_b32_e32 v18, v17
	v_mad_u64_u32 v[18:19], s[0:1], s21, v19, v[18:19]
	v_mov_b32_e32 v17, v18
	v_lshlrev_b64 v[16:17], 4, v[16:17]
	v_add_co_u32_e64 v78, s[0:1], v36, v16
	v_add_u32_e32 v19, 0x460, v103
	v_addc_co_u32_e64 v79, s[0:1], v37, v17, s[0:1]
	v_mad_u64_u32 v[16:17], s[0:1], s20, v19, 0
	v_mov_b32_e32 v18, v17
	v_mad_u64_u32 v[18:19], s[0:1], s21, v19, v[18:19]
	v_mov_b32_e32 v17, v18
	v_lshlrev_b64 v[16:17], 4, v[16:17]
	v_add_co_u32_e64 v80, s[0:1], v36, v16
	v_add_u32_e32 v19, 0x4b0, v103
	v_addc_co_u32_e64 v81, s[0:1], v37, v17, s[0:1]
	v_mad_u64_u32 v[16:17], s[0:1], s20, v19, 0
	v_mov_b32_e32 v18, v17
	v_mad_u64_u32 v[18:19], s[0:1], s21, v19, v[18:19]
	v_mov_b32_e32 v17, v18
	v_lshlrev_b64 v[16:17], 4, v[16:17]
	v_add_co_u32_e64 v82, s[0:1], v36, v16
	v_addc_co_u32_e64 v83, s[0:1], v37, v17, s[0:1]
	global_load_dwordx4 v[16:19], v[64:65], off
	global_load_dwordx4 v[36:39], v[66:67], off
	;; [unrolled: 1-line block ×8, first 2 shown]
	v_mov_b32_e32 v102, v103
.LBB0_13:
	s_or_b64 exec, exec, s[6:7]
	s_waitcnt vmcnt(6)
	v_add_f64 v[38:39], v[2:3], -v[38:39]
	s_waitcnt vmcnt(5)
	v_add_f64 v[54:55], v[22:23], -v[54:55]
	v_add_f64 v[36:37], v[0:1], -v[36:37]
	v_fma_f64 v[70:71], v[2:3], 2.0, -v[38:39]
	s_waitcnt vmcnt(2)
	v_add_f64 v[2:3], v[26:27], -v[50:51]
	v_add_f64 v[42:43], v[10:11], -v[42:43]
	v_add_f64 v[64:65], v[4:5], -v[16:17]
	v_add_f64 v[16:17], v[12:13], -v[60:61]
	v_add_f64 v[60:61], v[14:15], -v[62:63]
	v_add_f64 v[62:63], v[20:21], -v[52:53]
	v_fma_f64 v[52:53], v[22:23], 2.0, -v[54:55]
	s_waitcnt vmcnt(1)
	v_add_f64 v[22:23], v[32:33], -v[56:57]
	v_add_f64 v[56:57], v[34:35], -v[58:59]
	v_fma_f64 v[58:59], v[0:1], 2.0, -v[36:37]
	v_add_f64 v[0:1], v[24:25], -v[48:49]
	v_add_f64 v[40:41], v[8:9], -v[40:41]
	v_fma_f64 v[76:77], v[10:11], 2.0, -v[42:43]
	s_waitcnt vmcnt(0)
	v_add_f64 v[10:11], v[30:31], -v[46:47]
	v_add_f64 v[46:47], v[2:3], v[36:37]
	v_fma_f64 v[4:5], v[4:5], 2.0, -v[64:65]
	v_fma_f64 v[12:13], v[12:13], 2.0, -v[16:17]
	;; [unrolled: 1-line block ×4, first 2 shown]
	v_add_f64 v[8:9], v[28:29], -v[44:45]
	v_add_f64 v[66:67], v[38:39], -v[0:1]
	v_fma_f64 v[2:3], v[36:37], 2.0, -v[46:47]
	v_add_f64 v[36:37], v[40:41], v[10:11]
	s_mov_b32 s0, 0x667f3bcd
	v_fma_f64 v[30:31], v[30:31], 2.0, -v[10:11]
	v_add_f64 v[44:45], v[4:5], -v[12:13]
	v_fma_f64 v[12:13], v[38:39], 2.0, -v[66:67]
	v_add_f64 v[38:39], v[42:43], -v[8:9]
	v_fma_f64 v[10:11], v[40:41], 2.0, -v[36:37]
	s_mov_b32 s1, 0x3fe6a09e
	s_mov_b32 s15, 0xbfe6a09e
	;; [unrolled: 1-line block ×3, first 2 shown]
	v_fma_f64 v[20:21], v[20:21], 2.0, -v[62:63]
	v_fma_f64 v[32:33], v[32:33], 2.0, -v[22:23]
	;; [unrolled: 1-line block ×5, first 2 shown]
	v_fma_f64 v[0:1], s[14:15], v[10:11], v[2:3]
	v_fmac_f64_e32 v[0:1], s[0:1], v[8:9]
	v_fma_f64 v[8:9], s[14:15], v[8:9], v[12:13]
	v_add_f64 v[40:41], v[60:61], v[64:65]
	v_add_f64 v[50:51], v[20:21], -v[32:33]
	v_add_f64 v[32:33], v[62:63], v[56:57]
	v_fmac_f64_e32 v[8:9], s[14:15], v[10:11]
	v_fma_f64 v[10:11], v[64:65], 2.0, -v[40:41]
	v_add_f64 v[42:43], v[54:55], -v[22:23]
	v_fma_f64 v[78:79], v[62:63], 2.0, -v[32:33]
	v_fma_f64 v[80:81], v[54:55], 2.0, -v[42:43]
	v_add_f64 v[22:23], v[58:59], -v[24:25]
	v_add_f64 v[28:29], v[48:49], -v[28:29]
	v_fma_f64 v[88:89], s[14:15], v[78:79], v[10:11]
	v_fma_f64 v[4:5], v[4:5], 2.0, -v[44:45]
	v_fma_f64 v[20:21], v[20:21], 2.0, -v[50:51]
	;; [unrolled: 1-line block ×4, first 2 shown]
	v_fmac_f64_e32 v[88:89], s[0:1], v[80:81]
	s_mov_b32 s6, 0xcf328d46
	v_add_f64 v[86:87], v[4:5], -v[20:21]
	v_fma_f64 v[20:21], v[10:11], 2.0, -v[88:89]
	v_add_f64 v[48:49], v[24:25], -v[48:49]
	v_fma_f64 v[54:55], v[2:3], 2.0, -v[0:1]
	s_mov_b32 s7, 0xbfed906b
	s_mov_b32 s8, 0xa6aea964
	v_fma_f64 v[34:35], v[34:35], 2.0, -v[56:57]
	v_fma_f64 v[4:5], v[4:5], 2.0, -v[86:87]
	;; [unrolled: 1-line block ×4, first 2 shown]
	v_fma_f64 v[12:13], s[6:7], v[54:55], v[20:21]
	s_mov_b32 s9, 0x3fd87de2
	v_add_f64 v[10:11], v[4:5], -v[10:11]
	v_fmac_f64_e32 v[12:13], s[8:9], v[56:57]
	v_fma_f64 v[58:59], s[0:1], v[36:37], v[46:47]
	v_add_f64 v[68:69], v[52:53], -v[34:35]
	v_add_f64 v[24:25], v[70:71], -v[26:27]
	;; [unrolled: 1-line block ×3, first 2 shown]
	v_fma_f64 v[34:35], s[0:1], v[32:33], v[40:41]
	v_fma_f64 v[2:3], v[4:5], 2.0, -v[10:11]
	v_fma_f64 v[4:5], v[20:21], 2.0, -v[12:13]
	v_lshl_add_u32 v101, v103, 7, 0
	v_fmac_f64_e32 v[58:59], s[0:1], v[38:39]
	v_fma_f64 v[62:63], s[0:1], v[38:39], v[66:67]
	v_add_f64 v[30:31], v[68:69], v[44:45]
	v_fmac_f64_e32 v[34:35], s[0:1], v[42:43]
	v_add_f64 v[38:39], v[26:27], v[22:23]
	ds_write_b128 v101, v[2:5]
	v_fma_f64 v[2:3], v[44:45], 2.0, -v[30:31]
	v_fma_f64 v[4:5], v[40:41], 2.0, -v[34:35]
	;; [unrolled: 1-line block ×3, first 2 shown]
	v_fmac_f64_e32 v[62:63], s[14:15], v[36:37]
	v_add_f64 v[36:37], v[24:25], -v[28:29]
	v_fma_f64 v[64:65], v[46:47], 2.0, -v[58:59]
	v_fma_f64 v[20:21], s[14:15], v[40:41], v[2:3]
	s_mov_b32 s15, 0xbfd87de2
	s_mov_b32 s14, s8
	v_fma_f64 v[66:67], v[66:67], 2.0, -v[62:63]
	v_fma_f64 v[44:45], v[24:25], 2.0, -v[36:37]
	v_fma_f64 v[22:23], s[14:15], v[64:65], v[4:5]
	s_mov_b32 s17, 0x3fed906b
	s_mov_b32 s16, s6
	v_fmac_f64_e32 v[20:21], s[0:1], v[44:45]
	v_fmac_f64_e32 v[22:23], s[16:17], v[66:67]
	v_fma_f64 v[2:3], v[2:3], 2.0, -v[20:21]
	v_fma_f64 v[4:5], v[4:5], 2.0, -v[22:23]
	ds_write_b128 v101, v[2:5] offset:16
	v_fma_f64 v[82:83], v[70:71], 2.0, -v[24:25]
	v_fma_f64 v[2:3], v[76:77], 2.0, -v[26:27]
	v_add_f64 v[84:85], v[82:83], -v[2:3]
	v_fma_f64 v[26:27], s[8:9], v[0:1], v[88:89]
	v_add_f64 v[24:25], v[84:85], v[86:87]
	v_fmac_f64_e32 v[26:27], s[16:17], v[8:9]
	v_fma_f64 v[2:3], v[86:87], 2.0, -v[24:25]
	v_fma_f64 v[4:5], v[88:89], 2.0, -v[26:27]
	ds_write_b128 v101, v[2:5] offset:32
	v_fma_f64 v[2:3], s[0:1], v[38:39], v[30:31]
	v_fma_f64 v[4:5], s[16:17], v[58:59], v[34:35]
	v_fmac_f64_e32 v[2:3], s[0:1], v[36:37]
	v_fmac_f64_e32 v[4:5], s[8:9], v[62:63]
	v_fma_f64 v[28:29], v[30:31], 2.0, -v[2:3]
	v_fma_f64 v[30:31], v[34:35], 2.0, -v[4:5]
	ds_write_b128 v101, v[28:31] offset:48
	ds_write_b128 v101, v[10:13] offset:64
	;; [unrolled: 1-line block ×3, first 2 shown]
	v_mul_f64 v[94:95], v[78:79], s[0:1]
	v_mul_f64 v[96:97], v[80:81], s[0:1]
	;; [unrolled: 1-line block ×8, first 2 shown]
	s_movk_i32 s0, 0xff88
	s_load_dwordx2 s[4:5], s[4:5], 0x0
	ds_write_b128 v101, v[24:27] offset:96
	ds_write_b128 v101, v[2:5] offset:112
	v_mad_i32_i24 v2, v103, s0, v101
	v_lshl_add_u32 v106, v104, 3, 0
	s_waitcnt lgkmcnt(0)
	s_barrier
	v_add_u32_e32 v3, 0x1000, v2
	v_add_u32_e32 v20, 0x1400, v2
	;; [unrolled: 1-line block ×5, first 2 shown]
	v_lshl_add_u32 v107, v105, 3, 0
	ds_read_b64 v[80:81], v106
	ds_read_b64 v[78:79], v107
	ds_read_b64 v[98:99], v2 offset:9472
	ds_read2st64_b64 v[10:13], v2 offset1:4
	ds_read2_b64 v[44:47], v3 offset1:80
	ds_read2_b64 v[32:35], v20 offset0:32 offset1:128
	ds_read2_b64 v[40:43], v21 offset1:80
	ds_read2_b64 v[36:39], v22 offset0:80 offset1:160
	ds_read2_b64 v[28:31], v23 offset0:80 offset1:160
	v_mul_i32_i24_e32 v2, 0xffffff88, v103
	v_cmp_gt_u32_e64 s[0:1], 16, v103
	v_add_u32_e32 v108, v101, v2
	v_lshl_add_u32 v109, v100, 3, 0
                                        ; implicit-def: $vgpr22_vgpr23
                                        ; implicit-def: $vgpr26_vgpr27
	s_and_saveexec_b64 s[18:19], s[0:1]
	s_cbranch_execz .LBB0_15
; %bb.14:
	v_add_u32_e32 v2, 0x180, v108
	ds_read_b64 v[4:5], v109
	ds_read2st64_b64 v[24:27], v2 offset0:7 offset1:11
	ds_read2st64_b64 v[20:23], v2 offset0:15 offset1:19
.LBB0_15:
	s_or_b64 exec, exec, s[18:19]
	v_add_f64 v[2:3], v[6:7], -v[18:19]
	v_fma_f64 v[6:7], v[6:7], 2.0, -v[2:3]
	v_fma_f64 v[14:15], v[14:15], 2.0, -v[60:61]
	v_add_f64 v[16:17], v[2:3], -v[16:17]
	v_add_f64 v[14:15], v[6:7], -v[14:15]
	v_fma_f64 v[2:3], v[2:3], 2.0, -v[16:17]
	v_fma_f64 v[18:19], v[52:53], 2.0, -v[68:69]
	v_add_f64 v[52:53], v[2:3], -v[96:97]
	v_add_f64 v[68:69], v[14:15], -v[50:51]
	v_fma_f64 v[6:7], v[6:7], 2.0, -v[14:15]
	v_add_f64 v[60:61], v[52:53], -v[94:95]
	v_fma_f64 v[94:95], v[14:15], 2.0, -v[68:69]
	v_add_f64 v[14:15], v[16:17], v[92:93]
	v_fma_f64 v[2:3], v[2:3], 2.0, -v[60:61]
	v_add_f64 v[90:91], v[14:15], -v[90:91]
	v_fma_f64 v[92:93], v[16:17], 2.0, -v[90:91]
	v_fma_f64 v[16:17], s[6:7], v[56:57], v[2:3]
	v_add_f64 v[18:19], v[6:7], -v[18:19]
	v_fmac_f64_e32 v[16:17], s[14:15], v[54:55]
	v_fma_f64 v[6:7], v[6:7], 2.0, -v[18:19]
	v_fma_f64 v[14:15], v[82:83], 2.0, -v[84:85]
	;; [unrolled: 1-line block ×3, first 2 shown]
	v_add_f64 v[2:3], v[94:95], -v[88:89]
	v_fma_f64 v[8:9], s[8:9], v[8:9], v[60:61]
	v_add_f64 v[14:15], v[6:7], -v[14:15]
	v_add_f64 v[54:55], v[2:3], -v[86:87]
	v_fma_f64 v[56:57], s[14:15], v[66:67], v[92:93]
	v_fmac_f64_e32 v[8:9], s[6:7], v[0:1]
	v_add_f64 v[0:1], v[76:77], v[68:69]
	v_fma_f64 v[2:3], s[16:17], v[62:63], v[90:91]
	v_fma_f64 v[50:51], v[6:7], 2.0, -v[14:15]
	v_fmac_f64_e32 v[56:57], s[6:7], v[64:65]
	v_add_f64 v[6:7], v[18:19], -v[48:49]
	v_add_f64 v[0:1], v[0:1], -v[70:71]
	v_fmac_f64_e32 v[2:3], s[14:15], v[58:59]
	v_fma_f64 v[82:83], v[94:95], 2.0, -v[54:55]
	v_fma_f64 v[84:85], v[92:93], 2.0, -v[56:57]
	;; [unrolled: 1-line block ×6, first 2 shown]
	s_waitcnt lgkmcnt(0)
	s_barrier
	ds_write_b128 v101, v[50:53]
	ds_write_b128 v101, v[82:85] offset:16
	ds_write_b128 v101, v[64:67] offset:32
	;; [unrolled: 1-line block ×7, first 2 shown]
	v_add_u32_e32 v0, 0x1000, v108
	s_waitcnt lgkmcnt(0)
	s_barrier
	ds_read2_b64 v[68:71], v0 offset1:80
	v_add_u32_e32 v0, 0x1400, v108
	ds_read2_b64 v[48:51], v0 offset0:32 offset1:128
	v_add_u32_e32 v0, 0x2000, v108
	ds_read2_b64 v[64:67], v0 offset1:80
	v_add_u32_e32 v0, 0x800, v108
	ds_read2_b64 v[60:63], v0 offset0:80 offset1:160
	v_add_u32_e32 v0, 0x1800, v108
	ds_read2st64_b64 v[6:9], v108 offset1:4
	ds_read2_b64 v[56:59], v0 offset0:80 offset1:160
	ds_read_b64 v[76:77], v106
	ds_read_b64 v[0:1], v107
	ds_read_b64 v[100:101], v108 offset:9472
                                        ; implicit-def: $vgpr16_vgpr17
                                        ; implicit-def: $vgpr54_vgpr55
	s_and_saveexec_b64 s[6:7], s[0:1]
	s_cbranch_execz .LBB0_17
; %bb.16:
	v_add_u32_e32 v14, 0x180, v108
	ds_read_b64 v[2:3], v109
	ds_read2st64_b64 v[52:55], v14 offset0:7 offset1:11
	ds_read2st64_b64 v[14:17], v14 offset0:15 offset1:19
.LBB0_17:
	s_or_b64 exec, exec, s[6:7]
	v_and_b32_e32 v110, 15, v103
	v_lshlrev_b32_e32 v18, 6, v110
	global_load_dwordx2 v[140:141], v18, s[12:13]
	v_lshlrev_b32_e32 v18, 6, v103
	v_and_b32_e32 v111, 0x3c0, v18
	global_load_dwordx4 v[112:115], v111, s[12:13]
	global_load_dwordx4 v[116:119], v111, s[12:13] offset:8
	global_load_dwordx4 v[120:123], v111, s[12:13] offset:16
	;; [unrolled: 1-line block ×6, first 2 shown]
	s_mov_b32 s6, 0x134454ff
	s_mov_b32 s7, 0xbfee6f0e
	;; [unrolled: 1-line block ×10, first 2 shown]
	s_movk_i32 s20, 0x50
	s_waitcnt vmcnt(6) lgkmcnt(4)
	v_mul_f64 v[18:19], v[8:9], v[114:115]
	v_fmac_f64_e32 v[18:19], v[12:13], v[140:141]
	v_mul_f64 v[12:13], v[12:13], v[114:115]
	s_waitcnt vmcnt(2)
	v_mul_f64 v[84:85], v[50:51], v[130:131]
	v_fma_f64 v[8:9], v[8:9], v[140:141], -v[12:13]
	v_mul_f64 v[12:13], v[44:45], v[122:123]
	v_fmac_f64_e32 v[84:85], v[34:35], v[126:127]
	v_mul_f64 v[34:35], v[34:35], v[130:131]
	v_mul_f64 v[82:83], v[68:69], v[122:123]
	v_fma_f64 v[12:13], v[68:69], v[118:119], -v[12:13]
	v_fma_f64 v[68:69], v[50:51], v[126:127], -v[34:35]
	s_waitcnt vmcnt(0)
	v_mul_f64 v[34:35], v[40:41], v[138:139]
	v_fma_f64 v[94:95], v[64:65], v[134:135], -v[34:35]
	v_mul_f64 v[34:35], v[36:37], v[114:115]
	s_waitcnt lgkmcnt(3)
	v_mul_f64 v[90:91], v[56:57], v[130:131]
	v_mul_f64 v[86:87], v[60:61], v[114:115]
	v_fma_f64 v[60:61], v[60:61], v[140:141], -v[34:35]
	v_mul_f64 v[34:35], v[46:47], v[122:123]
	v_fmac_f64_e32 v[90:91], v[28:29], v[126:127]
	v_mul_f64 v[28:29], v[28:29], v[130:131]
	v_mul_f64 v[92:93], v[66:67], v[138:139]
	;; [unrolled: 1-line block ×4, first 2 shown]
	v_fma_f64 v[64:65], v[70:71], v[118:119], -v[34:35]
	v_fma_f64 v[70:71], v[56:57], v[126:127], -v[28:29]
	v_fmac_f64_e32 v[92:93], v[42:43], v[134:135]
	v_mul_f64 v[28:29], v[42:43], v[138:139]
	s_waitcnt lgkmcnt(0)
	v_mul_f64 v[42:43], v[14:15], v[132:133]
	v_fmac_f64_e32 v[42:43], v[20:21], v[128:129]
	v_mul_f64 v[20:21], v[20:21], v[132:133]
	v_fmac_f64_e32 v[86:87], v[36:37], v[140:141]
	v_fma_f64 v[36:37], v[14:15], v[128:129], -v[20:21]
	global_load_dwordx2 v[14:15], v111, s[12:13] offset:56
	v_mul_f64 v[56:57], v[48:49], v[122:123]
	v_fmac_f64_e32 v[96:97], v[40:41], v[134:135]
	v_fmac_f64_e32 v[56:57], v[32:33], v[118:119]
	v_mul_f64 v[32:33], v[32:33], v[122:123]
	v_mul_f64 v[40:41], v[52:53], v[116:117]
	v_fmac_f64_e32 v[82:83], v[44:45], v[118:119]
	v_fma_f64 v[44:45], v[48:49], v[118:119], -v[32:33]
	v_mul_f64 v[32:33], v[98:99], v[138:139]
	v_fmac_f64_e32 v[40:41], v[24:25], v[112:113]
	v_mul_f64 v[24:25], v[24:25], v[116:117]
	v_fmac_f64_e32 v[88:89], v[46:47], v[118:119]
	v_mul_f64 v[50:51], v[62:63], v[114:115]
	v_fma_f64 v[46:47], v[100:101], v[134:135], -v[32:33]
	v_fma_f64 v[32:33], v[52:53], v[112:113], -v[24:25]
	v_mul_f64 v[24:25], v[26:27], v[124:125]
	v_fma_f64 v[66:67], v[66:67], v[134:135], -v[28:29]
	v_fmac_f64_e32 v[50:51], v[38:39], v[140:141]
	v_mul_f64 v[28:29], v[38:39], v[114:115]
	v_mul_f64 v[38:39], v[54:55], v[124:125]
	v_fma_f64 v[34:35], v[54:55], v[120:121], -v[24:25]
	v_fma_f64 v[28:29], v[62:63], v[140:141], -v[28:29]
	v_fmac_f64_e32 v[38:39], v[26:27], v[120:121]
	v_add_f64 v[24:25], v[12:13], -v[68:69]
	v_add_f64 v[26:27], v[18:19], -v[82:83]
	;; [unrolled: 1-line block ×3, first 2 shown]
	v_mul_f64 v[48:49], v[58:59], v[130:131]
	v_add_f64 v[26:27], v[26:27], v[62:63]
	v_fmac_f64_e32 v[48:49], v[30:31], v[126:127]
	v_mul_f64 v[30:31], v[30:31], v[130:131]
	v_fma_f64 v[30:31], v[58:59], v[126:127], -v[30:31]
	v_mul_f64 v[58:59], v[100:101], v[138:139]
	v_fmac_f64_e32 v[58:59], v[98:99], v[134:135]
	v_add_f64 v[62:63], v[82:83], -v[18:19]
	v_add_f64 v[98:99], v[84:85], -v[96:97]
	v_add_f64 v[62:63], v[62:63], v[98:99]
	v_add_f64 v[98:99], v[64:65], -v[70:71]
	v_add_f64 v[112:113], v[86:87], -v[88:89]
	;; [unrolled: 1-line block ×3, first 2 shown]
	v_add_f64 v[112:113], v[112:113], v[114:115]
	v_add_f64 v[114:115], v[88:89], -v[86:87]
	v_add_f64 v[116:117], v[90:91], -v[92:93]
	v_add_f64 v[114:115], v[114:115], v[116:117]
	v_add_f64 v[120:121], v[50:51], -v[56:57]
	v_add_f64 v[122:123], v[58:59], -v[48:49]
	v_add_f64 v[120:121], v[120:121], v[122:123]
	s_barrier
	v_add_f64 v[122:123], v[56:57], -v[50:51]
	v_add_f64 v[124:125], v[48:49], -v[58:59]
	v_add_f64 v[122:123], v[122:123], v[124:125]
	s_waitcnt vmcnt(0)
	v_mul_f64 v[54:55], v[16:17], v[14:15]
	v_mul_f64 v[14:15], v[22:23], v[14:15]
	v_fma_f64 v[52:53], v[16:17], v[136:137], -v[14:15]
	v_add_f64 v[16:17], v[82:83], v[84:85]
	v_fmac_f64_e32 v[54:55], v[22:23], v[136:137]
	v_fma_f64 v[16:17], -0.5, v[16:17], v[10:11]
	v_add_f64 v[22:23], v[8:9], -v[94:95]
	v_fma_f64 v[20:21], s[6:7], v[22:23], v[16:17]
	v_fmac_f64_e32 v[16:17], s[16:17], v[22:23]
	v_fmac_f64_e32 v[20:21], s[8:9], v[24:25]
	;; [unrolled: 1-line block ×5, first 2 shown]
	v_add_f64 v[26:27], v[18:19], v[96:97]
	v_add_f64 v[14:15], v[10:11], v[18:19]
	v_fmac_f64_e32 v[10:11], -0.5, v[26:27]
	v_fma_f64 v[26:27], s[16:17], v[24:25], v[10:11]
	v_fmac_f64_e32 v[10:11], s[6:7], v[24:25]
	v_fmac_f64_e32 v[26:27], s[8:9], v[22:23]
	;; [unrolled: 1-line block ×3, first 2 shown]
	v_add_f64 v[24:25], v[88:89], v[90:91]
	v_fmac_f64_e32 v[26:27], s[14:15], v[62:63]
	v_fmac_f64_e32 v[10:11], s[14:15], v[62:63]
	v_fma_f64 v[24:25], -0.5, v[24:25], v[80:81]
	v_add_f64 v[62:63], v[60:61], -v[66:67]
	v_fma_f64 v[100:101], s[6:7], v[62:63], v[24:25]
	v_fmac_f64_e32 v[24:25], s[16:17], v[62:63]
	v_fmac_f64_e32 v[100:101], s[8:9], v[98:99]
	;; [unrolled: 1-line block ×5, first 2 shown]
	v_add_f64 v[112:113], v[86:87], v[92:93]
	v_add_f64 v[22:23], v[80:81], v[86:87]
	v_fmac_f64_e32 v[80:81], -0.5, v[112:113]
	v_fma_f64 v[112:113], s[16:17], v[98:99], v[80:81]
	v_fmac_f64_e32 v[80:81], s[6:7], v[98:99]
	v_fmac_f64_e32 v[112:113], s[8:9], v[62:63]
	;; [unrolled: 1-line block ×3, first 2 shown]
	v_add_f64 v[62:63], v[78:79], v[50:51]
	v_add_f64 v[62:63], v[62:63], v[56:57]
	;; [unrolled: 1-line block ×3, first 2 shown]
	v_fmac_f64_e32 v[112:113], s[14:15], v[114:115]
	v_fmac_f64_e32 v[80:81], s[14:15], v[114:115]
	v_add_f64 v[114:115], v[62:63], v[58:59]
	v_add_f64 v[62:63], v[56:57], v[48:49]
	v_fma_f64 v[116:117], -0.5, v[62:63], v[78:79]
	v_add_f64 v[62:63], v[28:29], -v[46:47]
	v_fma_f64 v[118:119], s[6:7], v[62:63], v[116:117]
	v_add_f64 v[98:99], v[44:45], -v[30:31]
	v_fmac_f64_e32 v[116:117], s[16:17], v[62:63]
	v_fmac_f64_e32 v[118:119], s[8:9], v[98:99]
	;; [unrolled: 1-line block ×5, first 2 shown]
	v_add_f64 v[120:121], v[50:51], v[58:59]
	v_fmac_f64_e32 v[78:79], -0.5, v[120:121]
	v_fma_f64 v[120:121], s[16:17], v[98:99], v[78:79]
	v_fmac_f64_e32 v[78:79], s[6:7], v[98:99]
	v_fmac_f64_e32 v[120:121], s[8:9], v[62:63]
	v_fmac_f64_e32 v[78:79], s[18:19], v[62:63]
	v_lshrrev_b32_e32 v62, 4, v103
	v_add_f64 v[14:15], v[14:15], v[82:83]
	v_mul_u32_u24_e32 v62, 0x50, v62
	v_add_f64 v[14:15], v[14:15], v[84:85]
	v_or_b32_e32 v62, v62, v110
	v_add_f64 v[14:15], v[14:15], v[96:97]
	v_lshl_add_u32 v63, v62, 3, 0
	ds_write2_b64 v63, v[14:15], v[20:21] offset1:16
	ds_write2_b64 v63, v[26:27], v[10:11] offset0:32 offset1:48
	ds_write_b64 v63, v[16:17] offset:512
	v_lshrrev_b32_e32 v10, 4, v104
	v_mul_lo_u32 v10, v10, s20
	v_or_b32_e32 v10, v10, v110
	v_add_f64 v[22:23], v[22:23], v[88:89]
	v_lshl_add_u32 v98, v10, 3, 0
	v_lshrrev_b32_e32 v10, 4, v105
	v_add_f64 v[22:23], v[22:23], v[90:91]
	v_mul_lo_u32 v10, v10, s20
	v_add_f64 v[22:23], v[22:23], v[92:93]
	v_or_b32_e32 v10, v10, v110
	ds_write2_b64 v98, v[22:23], v[100:101] offset1:16
	ds_write2_b64 v98, v[112:113], v[80:81] offset0:32 offset1:48
	ds_write_b64 v98, v[24:25] offset:512
	v_lshl_add_u32 v80, v10, 3, 0
	v_lshl_add_u32 v62, v103, 3, 0
	v_fmac_f64_e32 v[120:121], s[14:15], v[122:123]
	v_fmac_f64_e32 v[78:79], s[14:15], v[122:123]
	ds_write2_b64 v80, v[114:115], v[118:119] offset1:16
	ds_write2_b64 v80, v[120:121], v[78:79] offset0:32 offset1:48
	ds_write_b64 v80, v[116:117] offset:512
	s_and_saveexec_b64 s[20:21], s[0:1]
	s_cbranch_execz .LBB0_19
; %bb.18:
	v_add_f64 v[16:17], v[40:41], v[54:55]
	v_add_f64 v[10:11], v[38:39], -v[40:41]
	v_add_f64 v[14:15], v[42:43], -v[54:55]
	v_fma_f64 v[16:17], -0.5, v[16:17], v[4:5]
	v_add_f64 v[20:21], v[34:35], -v[36:37]
	v_add_f64 v[10:11], v[10:11], v[14:15]
	v_add_f64 v[14:15], v[32:33], -v[52:53]
	v_fma_f64 v[22:23], s[6:7], v[20:21], v[16:17]
	v_fmac_f64_e32 v[16:17], s[16:17], v[20:21]
	v_fmac_f64_e32 v[22:23], s[18:19], v[14:15]
	;; [unrolled: 1-line block ×5, first 2 shown]
	v_add_f64 v[10:11], v[40:41], -v[38:39]
	v_add_f64 v[24:25], v[54:55], -v[42:43]
	v_add_f64 v[10:11], v[10:11], v[24:25]
	v_add_f64 v[24:25], v[38:39], v[42:43]
	v_fma_f64 v[24:25], -0.5, v[24:25], v[4:5]
	v_add_f64 v[4:5], v[4:5], v[40:41]
	v_fma_f64 v[26:27], s[16:17], v[14:15], v[24:25]
	v_fmac_f64_e32 v[24:25], s[6:7], v[14:15]
	v_add_f64 v[4:5], v[4:5], v[38:39]
	v_fmac_f64_e32 v[26:27], s[18:19], v[20:21]
	v_fmac_f64_e32 v[24:25], s[8:9], v[20:21]
	v_add_f64 v[4:5], v[4:5], v[42:43]
	v_fmac_f64_e32 v[26:27], s[14:15], v[10:11]
	v_fmac_f64_e32 v[24:25], s[14:15], v[10:11]
	v_add_f64 v[4:5], v[4:5], v[54:55]
	v_add_u32_e32 v10, 0x2000, v62
	ds_write2_b64 v10, v[4:5], v[24:25] offset0:176 offset1:192
	ds_write2_b64 v10, v[16:17], v[22:23] offset0:208 offset1:224
	ds_write_b64 v62, v[26:27] offset:10112
.LBB0_19:
	s_or_b64 exec, exec, s[20:21]
	v_add_f64 v[10:11], v[12:13], v[68:69]
	v_fma_f64 v[78:79], -0.5, v[10:11], v[6:7]
	v_add_f64 v[10:11], v[18:19], -v[96:97]
	v_fma_f64 v[96:97], s[16:17], v[10:11], v[78:79]
	v_add_f64 v[14:15], v[82:83], -v[84:85]
	v_add_f64 v[16:17], v[8:9], -v[12:13]
	;; [unrolled: 1-line block ×3, first 2 shown]
	v_fmac_f64_e32 v[78:79], s[6:7], v[10:11]
	v_fmac_f64_e32 v[96:97], s[18:19], v[14:15]
	v_add_f64 v[16:17], v[16:17], v[18:19]
	v_fmac_f64_e32 v[78:79], s[8:9], v[14:15]
	v_fmac_f64_e32 v[96:97], s[14:15], v[16:17]
	;; [unrolled: 1-line block ×3, first 2 shown]
	v_add_f64 v[16:17], v[8:9], v[94:95]
	v_add_f64 v[4:5], v[6:7], v[8:9]
	v_fmac_f64_e32 v[6:7], -0.5, v[16:17]
	v_add_f64 v[4:5], v[4:5], v[12:13]
	v_fma_f64 v[82:83], s[6:7], v[14:15], v[6:7]
	v_add_f64 v[8:9], v[12:13], -v[8:9]
	v_add_f64 v[12:13], v[68:69], -v[94:95]
	v_fmac_f64_e32 v[6:7], s[16:17], v[14:15]
	v_fmac_f64_e32 v[82:83], s[18:19], v[10:11]
	v_add_f64 v[8:9], v[8:9], v[12:13]
	v_fmac_f64_e32 v[6:7], s[8:9], v[10:11]
	v_fmac_f64_e32 v[82:83], s[14:15], v[8:9]
	;; [unrolled: 1-line block ×3, first 2 shown]
	v_add_f64 v[8:9], v[76:77], v[60:61]
	v_add_f64 v[8:9], v[8:9], v[64:65]
	;; [unrolled: 1-line block ×6, first 2 shown]
	v_fma_f64 v[84:85], -0.5, v[8:9], v[76:77]
	v_add_f64 v[8:9], v[86:87], -v[92:93]
	v_fma_f64 v[86:87], s[16:17], v[8:9], v[84:85]
	v_add_f64 v[10:11], v[88:89], -v[90:91]
	v_add_f64 v[12:13], v[60:61], -v[64:65]
	;; [unrolled: 1-line block ×3, first 2 shown]
	v_fmac_f64_e32 v[84:85], s[6:7], v[8:9]
	v_fmac_f64_e32 v[86:87], s[18:19], v[10:11]
	v_add_f64 v[12:13], v[12:13], v[14:15]
	v_fmac_f64_e32 v[84:85], s[8:9], v[10:11]
	v_fmac_f64_e32 v[86:87], s[14:15], v[12:13]
	;; [unrolled: 1-line block ×3, first 2 shown]
	v_add_f64 v[12:13], v[60:61], v[66:67]
	v_fmac_f64_e32 v[76:77], -0.5, v[12:13]
	v_fma_f64 v[88:89], s[6:7], v[10:11], v[76:77]
	v_fmac_f64_e32 v[76:77], s[16:17], v[10:11]
	v_fmac_f64_e32 v[88:89], s[18:19], v[8:9]
	;; [unrolled: 1-line block ×3, first 2 shown]
	v_add_f64 v[8:9], v[0:1], v[28:29]
	v_add_f64 v[8:9], v[8:9], v[44:45]
	;; [unrolled: 1-line block ×3, first 2 shown]
	v_add_f64 v[12:13], v[64:65], -v[60:61]
	v_add_f64 v[14:15], v[70:71], -v[66:67]
	v_add_f64 v[60:61], v[8:9], v[46:47]
	v_add_f64 v[8:9], v[44:45], v[30:31]
	;; [unrolled: 1-line block ×3, first 2 shown]
	v_fma_f64 v[64:65], -0.5, v[8:9], v[0:1]
	v_add_f64 v[8:9], v[50:51], -v[58:59]
	v_fmac_f64_e32 v[88:89], s[14:15], v[12:13]
	v_fmac_f64_e32 v[76:77], s[14:15], v[12:13]
	v_fma_f64 v[58:59], s[16:17], v[8:9], v[64:65]
	v_add_f64 v[10:11], v[56:57], -v[48:49]
	v_add_f64 v[12:13], v[28:29], -v[44:45]
	;; [unrolled: 1-line block ×3, first 2 shown]
	v_fmac_f64_e32 v[64:65], s[6:7], v[8:9]
	v_fmac_f64_e32 v[58:59], s[18:19], v[10:11]
	v_add_f64 v[12:13], v[12:13], v[14:15]
	v_fmac_f64_e32 v[64:65], s[8:9], v[10:11]
	v_fmac_f64_e32 v[58:59], s[14:15], v[12:13]
	;; [unrolled: 1-line block ×3, first 2 shown]
	v_add_f64 v[12:13], v[28:29], v[46:47]
	v_fmac_f64_e32 v[0:1], -0.5, v[12:13]
	v_fma_f64 v[56:57], s[6:7], v[10:11], v[0:1]
	v_add_f64 v[12:13], v[44:45], -v[28:29]
	v_add_f64 v[14:15], v[30:31], -v[46:47]
	v_fmac_f64_e32 v[0:1], s[16:17], v[10:11]
	v_fmac_f64_e32 v[56:57], s[18:19], v[8:9]
	v_add_f64 v[12:13], v[12:13], v[14:15]
	v_fmac_f64_e32 v[0:1], s[8:9], v[8:9]
	v_fmac_f64_e32 v[56:57], s[14:15], v[12:13]
	;; [unrolled: 1-line block ×3, first 2 shown]
	v_add_u32_e32 v12, 0x800, v108
	v_add_u32_e32 v16, 0x1400, v108
	s_waitcnt lgkmcnt(0)
	s_barrier
	ds_read2st64_b64 v[8:11], v108 offset1:5
	ds_read_b64 v[44:45], v106
	ds_read_b64 v[48:49], v107
	ds_read2_b64 v[24:27], v12 offset0:144 offset1:224
	v_add_u32_e32 v12, 0x1000, v108
	ds_read2_b64 v[28:31], v16 offset0:80 offset1:160
	v_add_u32_e32 v16, 0x1800, v108
	v_add_u32_e32 v20, 0x2000, v108
	ds_read2_b64 v[12:15], v12 offset0:48 offset1:128
	ds_read2_b64 v[16:19], v16 offset0:112 offset1:192
	;; [unrolled: 1-line block ×3, first 2 shown]
	ds_read_b64 v[50:51], v109
	ds_read_b64 v[46:47], v108 offset:9600
	v_add_f64 v[4:5], v[4:5], v[94:95]
	s_waitcnt lgkmcnt(0)
	s_barrier
	ds_write2_b64 v63, v[4:5], v[96:97] offset1:16
	ds_write2_b64 v63, v[82:83], v[6:7] offset0:32 offset1:48
	ds_write_b64 v63, v[78:79] offset:512
	ds_write2_b64 v98, v[68:69], v[86:87] offset1:16
	ds_write2_b64 v98, v[88:89], v[76:77] offset0:32 offset1:48
	ds_write_b64 v98, v[84:85] offset:512
	ds_write2_b64 v80, v[60:61], v[58:59] offset1:16
	ds_write2_b64 v80, v[56:57], v[0:1] offset0:32 offset1:48
	ds_write_b64 v80, v[64:65] offset:512
	s_and_saveexec_b64 s[6:7], s[0:1]
	s_cbranch_execz .LBB0_21
; %bb.20:
	v_add_f64 v[4:5], v[34:35], v[36:37]
	s_mov_b32 s0, 0x134454ff
	v_fma_f64 v[4:5], -0.5, v[4:5], v[2:3]
	v_add_f64 v[6:7], v[40:41], -v[54:55]
	s_mov_b32 s1, 0x3fee6f0e
	s_mov_b32 s8, 0x4755a5e
	;; [unrolled: 1-line block ×4, first 2 shown]
	v_fma_f64 v[40:41], s[0:1], v[6:7], v[4:5]
	v_add_f64 v[38:39], v[38:39], -v[42:43]
	s_mov_b32 s9, 0x3fe2cf23
	v_add_f64 v[42:43], v[32:33], -v[34:35]
	v_add_f64 v[54:55], v[52:53], -v[36:37]
	v_fmac_f64_e32 v[4:5], s[16:17], v[6:7]
	s_mov_b32 s19, 0xbfe2cf23
	s_mov_b32 s18, s8
	v_fmac_f64_e32 v[40:41], s[8:9], v[38:39]
	v_add_f64 v[42:43], v[42:43], v[54:55]
	v_fmac_f64_e32 v[4:5], s[18:19], v[38:39]
	v_add_f64 v[0:1], v[2:3], v[32:33]
	v_fmac_f64_e32 v[40:41], s[14:15], v[42:43]
	v_fmac_f64_e32 v[4:5], s[14:15], v[42:43]
	v_add_f64 v[42:43], v[32:33], v[52:53]
	v_add_f64 v[0:1], v[0:1], v[34:35]
	v_fmac_f64_e32 v[2:3], -0.5, v[42:43]
	v_add_f64 v[0:1], v[0:1], v[36:37]
	v_fma_f64 v[42:43], s[16:17], v[38:39], v[2:3]
	v_add_f64 v[32:33], v[34:35], -v[32:33]
	v_add_f64 v[34:35], v[36:37], -v[52:53]
	v_fmac_f64_e32 v[2:3], s[0:1], v[38:39]
	v_add_f64 v[0:1], v[0:1], v[52:53]
	v_fmac_f64_e32 v[42:43], s[8:9], v[6:7]
	v_add_f64 v[32:33], v[32:33], v[34:35]
	v_fmac_f64_e32 v[2:3], s[18:19], v[6:7]
	v_add_u32_e32 v6, 0x2000, v62
	v_fmac_f64_e32 v[42:43], s[14:15], v[32:33]
	v_fmac_f64_e32 v[2:3], s[14:15], v[32:33]
	ds_write2_b64 v6, v[0:1], v[40:41] offset0:176 offset1:192
	ds_write2_b64 v6, v[42:43], v[2:3] offset0:208 offset1:224
	ds_write_b64 v62, v[4:5] offset:10112
.LBB0_21:
	s_or_b64 exec, exec, s[6:7]
	s_waitcnt lgkmcnt(0)
	s_barrier
	s_and_saveexec_b64 s[0:1], vcc
	s_cbranch_execz .LBB0_23
; %bb.22:
	v_mul_u32_u24_e32 v0, 15, v103
	v_lshlrev_b32_e32 v42, 4, v0
	global_load_dwordx4 v[0:3], v42, s[12:13] offset:1168
	global_load_dwordx4 v[52:55], v42, s[12:13] offset:1152
	;; [unrolled: 1-line block ×15, first 2 shown]
	v_add_u32_e32 v100, 0x1400, v108
	v_mul_lo_u32 v103, s5, v74
	v_mul_lo_u32 v104, s4, v75
	v_mad_u64_u32 v[40:41], s[0:1], s4, v74, 0
	ds_read2st64_b64 v[96:99], v108 offset1:5
	v_add_u32_e32 v105, 0x1000, v108
	v_add_u32_e32 v124, 0x1800, v108
	;; [unrolled: 1-line block ×4, first 2 shown]
	ds_read_b64 v[42:43], v109
	ds_read_b64 v[74:75], v108 offset:9600
	ds_read2_b64 v[114:117], v100 offset0:80 offset1:160
	ds_read_b64 v[100:101], v107
	ds_read_b64 v[108:109], v106
	v_add3_u32 v41, v41, v104, v103
	ds_read2_b64 v[104:107], v105 offset0:48 offset1:128
	s_mov_b32 s0, 0x667f3bcd
	s_mov_b32 s1, 0x3fe6a09e
	;; [unrolled: 1-line block ×12, first 2 shown]
	s_waitcnt vmcnt(14)
	v_mul_f64 v[118:119], v[30:31], v[2:3]
	s_waitcnt lgkmcnt(3)
	v_mul_f64 v[120:121], v[116:117], v[2:3]
	v_fma_f64 v[118:119], v[116:117], v[0:1], -v[118:119]
	v_fmac_f64_e32 v[120:121], v[30:31], v[0:1]
	s_waitcnt vmcnt(13)
	v_mul_f64 v[0:1], v[28:29], v[54:55]
	v_mul_f64 v[54:55], v[114:115], v[54:55]
	v_fma_f64 v[122:123], v[114:115], v[52:53], -v[0:1]
	ds_read2_b64 v[114:117], v124 offset0:112 offset1:192
	v_fmac_f64_e32 v[54:55], v[28:29], v[52:53]
	ds_read2_b64 v[0:3], v125 offset0:144 offset1:224
	ds_read2_b64 v[28:31], v126 offset0:16 offset1:96
	s_waitcnt vmcnt(12)
	v_mul_f64 v[52:53], v[48:49], v[58:59]
	s_waitcnt lgkmcnt(5)
	v_fma_f64 v[52:53], v[100:101], v[56:57], -v[52:53]
	v_mul_f64 v[58:59], v[100:101], v[58:59]
	s_waitcnt vmcnt(9)
	v_mul_f64 v[100:101], v[50:51], v[62:63]
	v_fma_f64 v[100:101], v[42:43], v[60:61], -v[100:101]
	v_mul_f64 v[42:43], v[42:43], v[62:63]
	v_fmac_f64_e32 v[42:43], v[50:51], v[60:61]
	s_waitcnt vmcnt(7)
	v_mul_f64 v[60:61], v[26:27], v[64:65]
	v_mul_f64 v[26:27], v[26:27], v[66:67]
	s_waitcnt lgkmcnt(1)
	v_fmac_f64_e32 v[60:61], v[2:3], v[66:67]
	v_fma_f64 v[26:27], v[2:3], v[64:65], -v[26:27]
	s_waitcnt vmcnt(6)
	v_mul_f64 v[2:3], v[22:23], v[68:69]
	s_waitcnt lgkmcnt(0)
	v_fmac_f64_e32 v[2:3], v[30:31], v[70:71]
	s_waitcnt vmcnt(4)
	v_mul_f64 v[62:63], v[24:25], v[80:81]
	v_mul_f64 v[24:25], v[24:25], v[82:83]
	v_fmac_f64_e32 v[62:63], v[0:1], v[82:83]
	v_fma_f64 v[24:25], v[0:1], v[80:81], -v[24:25]
	v_add_f64 v[66:67], v[60:61], -v[2:3]
	s_waitcnt vmcnt(3)
	v_mul_f64 v[0:1], v[46:47], v[84:85]
	v_mul_f64 v[2:3], v[46:47], v[86:87]
	s_waitcnt vmcnt(2)
	v_mul_f64 v[46:47], v[12:13], v[88:89]
	v_fmac_f64_e32 v[0:1], v[74:75], v[86:87]
	v_fmac_f64_e32 v[46:47], v[104:105], v[90:91]
	v_fma_f64 v[2:3], v[74:75], v[84:85], -v[2:3]
	v_add_f64 v[74:75], v[46:47], -v[0:1]
	s_waitcnt vmcnt(1)
	v_mul_f64 v[0:1], v[44:45], v[94:95]
	v_fma_f64 v[86:87], v[108:109], v[92:93], -v[0:1]
	s_waitcnt vmcnt(0)
	v_mul_f64 v[0:1], v[20:21], v[110:111]
	v_mul_f64 v[94:95], v[108:109], v[94:95]
	v_fmac_f64_e32 v[0:1], v[28:29], v[112:113]
	v_fmac_f64_e32 v[94:95], v[44:45], v[92:93]
	v_add_f64 v[44:45], v[62:63], -v[0:1]
	v_mul_f64 v[0:1], v[114:115], v[78:79]
	v_mul_f64 v[22:23], v[22:23], v[70:71]
	v_fmac_f64_e32 v[0:1], v[16:17], v[76:77]
	v_fma_f64 v[22:23], v[30:31], v[68:69], -v[22:23]
	v_mul_f64 v[30:31], v[16:17], v[78:79]
	v_add_f64 v[78:79], v[42:43], -v[0:1]
	v_mul_f64 v[0:1], v[12:13], v[90:91]
	v_fma_f64 v[12:13], v[104:105], v[88:89], -v[0:1]
	v_mul_f64 v[0:1], v[20:21], v[112:113]
	v_fma_f64 v[0:1], v[28:29], v[110:111], -v[0:1]
	v_add_f64 v[28:29], v[24:25], -v[0:1]
	v_mul_f64 v[0:1], v[10:11], v[38:39]
	v_fmac_f64_e32 v[58:59], v[48:49], v[56:57]
	v_mul_f64 v[56:57], v[10:11], v[36:37]
	v_fma_f64 v[10:11], v[98:99], v[36:37], -v[0:1]
	v_mul_f64 v[0:1], v[18:19], v[34:35]
	v_mul_f64 v[48:49], v[14:15], v[6:7]
	v_fma_f64 v[0:1], v[116:117], v[32:33], -v[0:1]
	v_mul_f64 v[50:51], v[18:19], v[32:33]
	v_fma_f64 v[48:49], v[106:107], v[4:5], -v[48:49]
	v_add_f64 v[18:19], v[10:11], -v[0:1]
	v_mul_f64 v[0:1], v[106:107], v[6:7]
	v_add_f64 v[48:49], v[96:97], -v[48:49]
	v_fmac_f64_e32 v[0:1], v[14:15], v[4:5]
	v_fmac_f64_e32 v[50:51], v[116:117], v[34:35]
	v_add_f64 v[68:69], v[58:59], -v[120:121]
	v_add_f64 v[34:35], v[8:9], -v[0:1]
	v_fma_f64 v[36:37], v[96:97], 2.0, -v[48:49]
	v_fma_f64 v[4:5], v[10:11], 2.0, -v[18:19]
	v_fmac_f64_e32 v[56:57], v[98:99], v[38:39]
	v_add_f64 v[64:65], v[52:53], -v[118:119]
	v_add_f64 v[120:121], v[86:87], -v[122:123]
	v_add_f64 v[38:39], v[34:35], v[18:19]
	v_add_f64 v[96:97], v[36:37], -v[4:5]
	v_fma_f64 v[18:19], v[58:59], 2.0, -v[68:69]
	v_fma_f64 v[4:5], v[60:61], 2.0, -v[66:67]
	v_fma_f64 v[30:31], v[114:115], v[76:77], -v[30:31]
	v_add_f64 v[80:81], v[64:65], -v[66:67]
	v_add_f64 v[20:21], v[94:95], -v[54:55]
	;; [unrolled: 1-line block ×3, first 2 shown]
	v_fma_f64 v[66:67], v[86:87], 2.0, -v[120:121]
	v_fma_f64 v[4:5], v[24:25], 2.0, -v[28:29]
	v_add_f64 v[30:31], v[100:101], -v[30:31]
	v_add_f64 v[54:55], v[20:21], v[28:29]
	v_add_f64 v[86:87], v[66:67], -v[4:5]
	v_fma_f64 v[28:29], v[42:43], 2.0, -v[78:79]
	v_fma_f64 v[4:5], v[46:47], 2.0, -v[74:75]
	v_add_f64 v[84:85], v[30:31], -v[74:75]
	v_add_f64 v[88:89], v[12:13], -v[2:3]
	;; [unrolled: 1-line block ×3, first 2 shown]
	v_fma_f64 v[74:75], v[94:95], 2.0, -v[20:21]
	v_fma_f64 v[4:5], v[62:63], 2.0, -v[44:45]
	v_add_f64 v[50:51], v[56:57], -v[50:51]
	v_add_f64 v[22:23], v[26:27], -v[22:23]
	;; [unrolled: 1-line block ×4, first 2 shown]
	v_fma_f64 v[44:45], v[100:101], 2.0, -v[30:31]
	v_fma_f64 v[4:5], v[12:13], 2.0, -v[88:89]
	v_add_f64 v[70:71], v[48:49], -v[50:51]
	v_add_f64 v[12:13], v[44:45], -v[4:5]
	v_fma_f64 v[52:53], v[52:53], 2.0, -v[64:65]
	v_fma_f64 v[4:5], v[26:27], 2.0, -v[22:23]
	v_add_f64 v[82:83], v[68:69], v[22:23]
	v_fma_f64 v[118:119], s[0:1], v[80:81], v[70:71]
	v_fma_f64 v[76:77], s[0:1], v[84:85], v[92:93]
	v_add_f64 v[90:91], v[78:79], v[88:89]
	v_add_f64 v[26:27], v[52:53], -v[4:5]
	v_fma_f64 v[94:95], v[8:9], 2.0, -v[34:35]
	v_fma_f64 v[4:5], v[56:57], 2.0, -v[50:51]
	v_fmac_f64_e32 v[118:119], s[4:5], v[82:83]
	v_fmac_f64_e32 v[76:77], s[4:5], v[90:91]
	v_fma_f64 v[104:105], s[0:1], v[90:91], v[54:55]
	v_add_f64 v[50:51], v[94:95], -v[4:5]
	v_fma_f64 v[100:101], v[48:49], 2.0, -v[70:71]
	v_fma_f64 v[8:9], v[64:65], 2.0, -v[80:81]
	;; [unrolled: 1-line block ×6, first 2 shown]
	v_fmac_f64_e32 v[104:105], s[0:1], v[84:85]
	v_fma_f64 v[98:99], s[0:1], v[82:83], v[38:39]
	v_add_f64 v[46:47], v[86:87], -v[42:43]
	v_add_f64 v[56:57], v[50:51], v[26:27]
	v_fma_f64 v[64:65], s[4:5], v[8:9], v[100:101]
	v_fma_f64 v[48:49], v[68:69], 2.0, -v[82:83]
	v_fma_f64 v[30:31], v[30:31], 2.0, -v[84:85]
	v_fma_f64 v[84:85], v[34:35], 2.0, -v[38:39]
	v_add_f64 v[108:109], v[106:107], -v[20:21]
	v_fma_f64 v[20:21], v[28:29], 2.0, -v[42:43]
	v_fma_f64 v[26:27], v[70:71], 2.0, -v[118:119]
	;; [unrolled: 1-line block ×3, first 2 shown]
	v_fmac_f64_e32 v[98:99], s[0:1], v[80:81]
	v_fmac_f64_e32 v[64:65], s[4:5], v[48:49]
	v_fma_f64 v[90:91], s[4:5], v[48:49], v[84:85]
	v_fma_f64 v[28:29], s[6:7], v[42:43], v[26:27]
	v_fma_f64 v[48:49], v[54:55], 2.0, -v[104:105]
	v_fmac_f64_e32 v[28:29], s[14:15], v[48:49]
	v_fma_f64 v[38:39], v[38:39], 2.0, -v[98:99]
	v_add_f64 v[88:89], v[12:13], v[62:63]
	v_fma_f64 v[12:13], v[44:45], 2.0, -v[12:13]
	v_fma_f64 v[44:45], v[26:27], 2.0, -v[28:29]
	v_fma_f64 v[26:27], s[6:7], v[48:49], v[38:39]
	v_add_f64 v[60:61], v[96:97], -v[58:59]
	v_fmac_f64_e32 v[26:27], s[12:13], v[42:43]
	v_fma_f64 v[4:5], s[0:1], v[88:89], v[56:57]
	v_fma_f64 v[42:43], v[38:39], 2.0, -v[26:27]
	v_fma_f64 v[38:39], v[96:97], 2.0, -v[60:61]
	;; [unrolled: 1-line block ×3, first 2 shown]
	v_fma_f64 v[6:7], s[0:1], v[46:47], v[60:61]
	v_fmac_f64_e32 v[4:5], s[0:1], v[46:47]
	v_fma_f64 v[48:49], s[4:5], v[54:55], v[38:39]
	v_fma_f64 v[46:47], v[62:63], 2.0, -v[88:89]
	v_fmac_f64_e32 v[48:49], s[4:5], v[46:47]
	v_fma_f64 v[68:69], v[120:121], 2.0, -v[92:93]
	v_fma_f64 v[52:53], v[38:39], 2.0, -v[48:49]
	;; [unrolled: 1-line block ×3, first 2 shown]
	v_fma_f64 v[80:81], s[4:5], v[30:31], v[68:69]
	v_fma_f64 v[46:47], s[4:5], v[46:47], v[38:39]
	v_fmac_f64_e32 v[80:81], s[4:5], v[32:33]
	v_fma_f64 v[82:83], s[4:5], v[32:33], v[78:79]
	v_fmac_f64_e32 v[46:47], s[0:1], v[54:55]
	v_fmac_f64_e32 v[82:83], s[0:1], v[30:31]
	v_fma_f64 v[94:95], v[94:95], 2.0, -v[50:51]
	v_fma_f64 v[18:19], v[18:19], 2.0, -v[58:59]
	;; [unrolled: 1-line block ×6, first 2 shown]
	v_fma_f64 v[56:57], s[14:15], v[58:59], v[38:39]
	v_fma_f64 v[54:55], v[78:79], 2.0, -v[82:83]
	v_fmac_f64_e32 v[6:7], s[4:5], v[88:89]
	v_fmac_f64_e32 v[90:91], s[0:1], v[8:9]
	;; [unrolled: 1-line block ×3, first 2 shown]
	v_fma_f64 v[24:25], v[60:61], 2.0, -v[6:7]
	v_fma_f64 v[60:61], v[38:39], 2.0, -v[56:57]
	;; [unrolled: 1-line block ×4, first 2 shown]
	v_fma_f64 v[54:55], s[14:15], v[54:55], v[38:39]
	v_fma_f64 v[10:11], s[8:9], v[80:81], v[64:65]
	v_add_f64 v[112:113], v[94:95], -v[18:19]
	v_add_f64 v[12:13], v[66:67], -v[12:13]
	v_fmac_f64_e32 v[54:55], s[8:9], v[58:59]
	v_fmac_f64_e32 v[10:11], s[14:15], v[82:83]
	v_fma_f64 v[74:75], v[74:75], 2.0, -v[62:63]
	v_add_f64 v[18:19], v[112:113], v[12:13]
	v_fma_f64 v[58:59], v[38:39], 2.0, -v[54:55]
	v_fma_f64 v[38:39], v[106:107], 2.0, -v[108:109]
	;; [unrolled: 1-line block ×4, first 2 shown]
	v_add_f64 v[110:111], v[74:75], -v[20:21]
	v_add_f64 v[64:65], v[38:39], -v[12:13]
	v_fma_f64 v[68:69], v[38:39], 2.0, -v[64:65]
	v_fma_f64 v[12:13], v[94:95], 2.0, -v[112:113]
	;; [unrolled: 1-line block ×3, first 2 shown]
	v_add_f64 v[62:63], v[12:13], -v[38:39]
	v_fma_f64 v[66:67], v[12:13], 2.0, -v[62:63]
	v_mad_u64_u32 v[12:13], s[0:1], s2, v102, 0
	v_mov_b32_e32 v38, v13
	v_mad_u64_u32 v[38:39], s[0:1], s3, v102, v[38:39]
	v_mov_b32_e32 v13, v38
	v_lshlrev_b64 v[38:39], 4, v[40:41]
	v_mov_b32_e32 v40, s11
	v_add_co_u32_e32 v41, vcc, s10, v38
	v_addc_co_u32_e32 v40, vcc, v40, v39, vcc
	v_lshlrev_b64 v[38:39], 4, v[72:73]
	v_add_co_u32_e32 v41, vcc, v41, v38
	v_addc_co_u32_e32 v40, vcc, v40, v39, vcc
	v_lshlrev_b64 v[12:13], 4, v[12:13]
	v_add_co_u32_e32 v12, vcc, v41, v12
	v_addc_co_u32_e32 v13, vcc, v40, v13, vcc
	v_add_u32_e32 v39, 0x50, v102
	global_store_dwordx4 v[12:13], v[66:69], off
	v_mad_u64_u32 v[12:13], s[0:1], s2, v39, 0
	v_mov_b32_e32 v38, v13
	v_mad_u64_u32 v[38:39], s[0:1], s3, v39, v[38:39]
	v_mov_b32_e32 v13, v38
	v_lshlrev_b64 v[12:13], 4, v[12:13]
	v_add_co_u32_e32 v12, vcc, v41, v12
	v_addc_co_u32_e32 v13, vcc, v40, v13, vcc
	v_add_u32_e32 v39, 0xa0, v102
	global_store_dwordx4 v[12:13], v[58:61], off
	v_mad_u64_u32 v[12:13], s[0:1], s2, v39, 0
	v_mov_b32_e32 v38, v13
	v_mad_u64_u32 v[38:39], s[0:1], s3, v39, v[38:39]
	v_mov_b32_e32 v13, v38
	;; [unrolled: 9-line block ×4, first 2 shown]
	v_lshlrev_b64 v[12:13], 4, v[12:13]
	v_add_f64 v[20:21], v[108:109], -v[110:111]
	v_add_co_u32_e32 v12, vcc, v41, v12
	v_fma_f64 v[36:37], v[108:109], 2.0, -v[20:21]
	v_fma_f64 v[34:35], v[112:113], 2.0, -v[18:19]
	v_addc_co_u32_e32 v13, vcc, v40, v13, vcc
	global_store_dwordx4 v[12:13], v[34:37], off
	v_fma_f64 v[8:9], s[8:9], v[82:83], v[90:91]
	v_add_u32_e32 v35, 0x190, v102
	v_mad_u64_u32 v[12:13], s[0:1], s2, v35, 0
	v_mov_b32_e32 v34, v13
	v_mad_u64_u32 v[34:35], s[0:1], s3, v35, v[34:35]
	v_mov_b32_e32 v13, v34
	v_lshlrev_b64 v[12:13], 4, v[12:13]
	v_fmac_f64_e32 v[8:9], s[12:13], v[80:81]
	v_add_co_u32_e32 v12, vcc, v41, v12
	v_fma_f64 v[30:31], v[90:91], 2.0, -v[8:9]
	v_addc_co_u32_e32 v13, vcc, v40, v13, vcc
	global_store_dwordx4 v[12:13], v[30:33], off
	v_fma_f64 v[2:3], s[12:13], v[76:77], v[118:119]
	v_add_u32_e32 v31, 0x1e0, v102
	v_mad_u64_u32 v[12:13], s[0:1], s2, v31, 0
	v_mov_b32_e32 v30, v13
	v_mad_u64_u32 v[30:31], s[0:1], s3, v31, v[30:31]
	v_mov_b32_e32 v13, v30
	v_lshlrev_b64 v[12:13], 4, v[12:13]
	v_add_co_u32_e32 v12, vcc, v41, v12
	v_addc_co_u32_e32 v13, vcc, v40, v13, vcc
	global_store_dwordx4 v[12:13], v[22:25], off
	v_fma_f64 v[0:1], s[12:13], v[104:105], v[98:99]
	v_add_u32_e32 v23, 0x230, v102
	v_mad_u64_u32 v[12:13], s[0:1], s2, v23, 0
	v_mov_b32_e32 v22, v13
	v_mad_u64_u32 v[22:23], s[0:1], s3, v23, v[22:23]
	v_mov_b32_e32 v13, v22
	v_lshlrev_b64 v[12:13], 4, v[12:13]
	v_fmac_f64_e32 v[2:3], s[6:7], v[104:105]
	v_fmac_f64_e32 v[0:1], s[8:9], v[76:77]
	v_add_co_u32_e32 v12, vcc, v41, v12
	v_fma_f64 v[16:17], v[118:119], 2.0, -v[2:3]
	v_fma_f64 v[14:15], v[98:99], 2.0, -v[0:1]
	v_addc_co_u32_e32 v13, vcc, v40, v13, vcc
	global_store_dwordx4 v[12:13], v[14:17], off
	s_nop 0
	v_or_b32_e32 v15, 0x280, v102
	v_mad_u64_u32 v[12:13], s[0:1], s2, v15, 0
	v_mov_b32_e32 v14, v13
	v_mad_u64_u32 v[14:15], s[0:1], s3, v15, v[14:15]
	v_mov_b32_e32 v13, v14
	v_lshlrev_b64 v[12:13], 4, v[12:13]
	v_add_co_u32_e32 v12, vcc, v41, v12
	v_addc_co_u32_e32 v13, vcc, v40, v13, vcc
	v_add_u32_e32 v15, 0x2d0, v102
	global_store_dwordx4 v[12:13], v[62:65], off
	v_mad_u64_u32 v[12:13], s[0:1], s2, v15, 0
	v_mov_b32_e32 v14, v13
	v_mad_u64_u32 v[14:15], s[0:1], s3, v15, v[14:15]
	v_mov_b32_e32 v13, v14
	v_lshlrev_b64 v[12:13], 4, v[12:13]
	v_add_co_u32_e32 v12, vcc, v41, v12
	v_addc_co_u32_e32 v13, vcc, v40, v13, vcc
	v_add_u32_e32 v15, 0x320, v102
	global_store_dwordx4 v[12:13], v[54:57], off
	;; [unrolled: 9-line block ×5, first 2 shown]
	v_mad_u64_u32 v[12:13], s[0:1], s2, v15, 0
	v_mov_b32_e32 v14, v13
	v_mad_u64_u32 v[14:15], s[0:1], s3, v15, v[14:15]
	v_mov_b32_e32 v13, v14
	v_lshlrev_b64 v[12:13], 4, v[12:13]
	v_add_co_u32_e32 v12, vcc, v41, v12
	v_addc_co_u32_e32 v13, vcc, v40, v13, vcc
	global_store_dwordx4 v[12:13], v[8:11], off
	s_nop 0
	v_add_u32_e32 v11, 0x460, v102
	v_mad_u64_u32 v[8:9], s[0:1], s2, v11, 0
	v_mov_b32_e32 v10, v9
	v_mad_u64_u32 v[10:11], s[0:1], s3, v11, v[10:11]
	v_mov_b32_e32 v9, v10
	v_lshlrev_b64 v[8:9], 4, v[8:9]
	v_add_co_u32_e32 v8, vcc, v41, v8
	v_addc_co_u32_e32 v9, vcc, v40, v9, vcc
	global_store_dwordx4 v[8:9], v[4:7], off
	s_nop 0
	v_add_u32_e32 v7, 0x4b0, v102
	v_mad_u64_u32 v[4:5], s[0:1], s2, v7, 0
	v_mov_b32_e32 v6, v5
	v_mad_u64_u32 v[6:7], s[0:1], s3, v7, v[6:7]
	v_mov_b32_e32 v5, v6
	v_lshlrev_b64 v[4:5], 4, v[4:5]
	v_add_co_u32_e32 v4, vcc, v41, v4
	v_addc_co_u32_e32 v5, vcc, v40, v5, vcc
	global_store_dwordx4 v[4:5], v[0:3], off
.LBB0_23:
	s_endpgm
	.section	.rodata,"a",@progbits
	.p2align	6, 0x0
	.amdhsa_kernel fft_rtc_back_len1280_factors_16_5_16_wgs_80_tpt_80_halfLds_dp_op_CI_CI_sbrr_dirReg
		.amdhsa_group_segment_fixed_size 0
		.amdhsa_private_segment_fixed_size 0
		.amdhsa_kernarg_size 104
		.amdhsa_user_sgpr_count 6
		.amdhsa_user_sgpr_private_segment_buffer 1
		.amdhsa_user_sgpr_dispatch_ptr 0
		.amdhsa_user_sgpr_queue_ptr 0
		.amdhsa_user_sgpr_kernarg_segment_ptr 1
		.amdhsa_user_sgpr_dispatch_id 0
		.amdhsa_user_sgpr_flat_scratch_init 0
		.amdhsa_user_sgpr_kernarg_preload_length 0
		.amdhsa_user_sgpr_kernarg_preload_offset 0
		.amdhsa_user_sgpr_private_segment_size 0
		.amdhsa_uses_dynamic_stack 0
		.amdhsa_system_sgpr_private_segment_wavefront_offset 0
		.amdhsa_system_sgpr_workgroup_id_x 1
		.amdhsa_system_sgpr_workgroup_id_y 0
		.amdhsa_system_sgpr_workgroup_id_z 0
		.amdhsa_system_sgpr_workgroup_info 0
		.amdhsa_system_vgpr_workitem_id 0
		.amdhsa_next_free_vgpr 142
		.amdhsa_next_free_sgpr 32
		.amdhsa_accum_offset 144
		.amdhsa_reserve_vcc 1
		.amdhsa_reserve_flat_scratch 0
		.amdhsa_float_round_mode_32 0
		.amdhsa_float_round_mode_16_64 0
		.amdhsa_float_denorm_mode_32 3
		.amdhsa_float_denorm_mode_16_64 3
		.amdhsa_dx10_clamp 1
		.amdhsa_ieee_mode 1
		.amdhsa_fp16_overflow 0
		.amdhsa_tg_split 0
		.amdhsa_exception_fp_ieee_invalid_op 0
		.amdhsa_exception_fp_denorm_src 0
		.amdhsa_exception_fp_ieee_div_zero 0
		.amdhsa_exception_fp_ieee_overflow 0
		.amdhsa_exception_fp_ieee_underflow 0
		.amdhsa_exception_fp_ieee_inexact 0
		.amdhsa_exception_int_div_zero 0
	.end_amdhsa_kernel
	.text
.Lfunc_end0:
	.size	fft_rtc_back_len1280_factors_16_5_16_wgs_80_tpt_80_halfLds_dp_op_CI_CI_sbrr_dirReg, .Lfunc_end0-fft_rtc_back_len1280_factors_16_5_16_wgs_80_tpt_80_halfLds_dp_op_CI_CI_sbrr_dirReg
                                        ; -- End function
	.section	.AMDGPU.csdata,"",@progbits
; Kernel info:
; codeLenInByte = 9692
; NumSgprs: 36
; NumVgprs: 142
; NumAgprs: 0
; TotalNumVgprs: 142
; ScratchSize: 0
; MemoryBound: 1
; FloatMode: 240
; IeeeMode: 1
; LDSByteSize: 0 bytes/workgroup (compile time only)
; SGPRBlocks: 4
; VGPRBlocks: 17
; NumSGPRsForWavesPerEU: 36
; NumVGPRsForWavesPerEU: 142
; AccumOffset: 144
; Occupancy: 3
; WaveLimiterHint : 1
; COMPUTE_PGM_RSRC2:SCRATCH_EN: 0
; COMPUTE_PGM_RSRC2:USER_SGPR: 6
; COMPUTE_PGM_RSRC2:TRAP_HANDLER: 0
; COMPUTE_PGM_RSRC2:TGID_X_EN: 1
; COMPUTE_PGM_RSRC2:TGID_Y_EN: 0
; COMPUTE_PGM_RSRC2:TGID_Z_EN: 0
; COMPUTE_PGM_RSRC2:TIDIG_COMP_CNT: 0
; COMPUTE_PGM_RSRC3_GFX90A:ACCUM_OFFSET: 35
; COMPUTE_PGM_RSRC3_GFX90A:TG_SPLIT: 0
	.text
	.p2alignl 6, 3212836864
	.fill 256, 4, 3212836864
	.type	__hip_cuid_70a4373ac4b5a663,@object ; @__hip_cuid_70a4373ac4b5a663
	.section	.bss,"aw",@nobits
	.globl	__hip_cuid_70a4373ac4b5a663
__hip_cuid_70a4373ac4b5a663:
	.byte	0                               ; 0x0
	.size	__hip_cuid_70a4373ac4b5a663, 1

	.ident	"AMD clang version 19.0.0git (https://github.com/RadeonOpenCompute/llvm-project roc-6.4.0 25133 c7fe45cf4b819c5991fe208aaa96edf142730f1d)"
	.section	".note.GNU-stack","",@progbits
	.addrsig
	.addrsig_sym __hip_cuid_70a4373ac4b5a663
	.amdgpu_metadata
---
amdhsa.kernels:
  - .agpr_count:     0
    .args:
      - .actual_access:  read_only
        .address_space:  global
        .offset:         0
        .size:           8
        .value_kind:     global_buffer
      - .offset:         8
        .size:           8
        .value_kind:     by_value
      - .actual_access:  read_only
        .address_space:  global
        .offset:         16
        .size:           8
        .value_kind:     global_buffer
      - .actual_access:  read_only
        .address_space:  global
        .offset:         24
        .size:           8
        .value_kind:     global_buffer
      - .actual_access:  read_only
        .address_space:  global
        .offset:         32
        .size:           8
        .value_kind:     global_buffer
      - .offset:         40
        .size:           8
        .value_kind:     by_value
      - .actual_access:  read_only
        .address_space:  global
        .offset:         48
        .size:           8
        .value_kind:     global_buffer
      - .actual_access:  read_only
        .address_space:  global
        .offset:         56
        .size:           8
        .value_kind:     global_buffer
      - .offset:         64
        .size:           4
        .value_kind:     by_value
      - .actual_access:  read_only
        .address_space:  global
        .offset:         72
        .size:           8
        .value_kind:     global_buffer
      - .actual_access:  read_only
        .address_space:  global
        .offset:         80
        .size:           8
        .value_kind:     global_buffer
      - .actual_access:  read_only
        .address_space:  global
        .offset:         88
        .size:           8
        .value_kind:     global_buffer
      - .actual_access:  write_only
        .address_space:  global
        .offset:         96
        .size:           8
        .value_kind:     global_buffer
    .group_segment_fixed_size: 0
    .kernarg_segment_align: 8
    .kernarg_segment_size: 104
    .language:       OpenCL C
    .language_version:
      - 2
      - 0
    .max_flat_workgroup_size: 80
    .name:           fft_rtc_back_len1280_factors_16_5_16_wgs_80_tpt_80_halfLds_dp_op_CI_CI_sbrr_dirReg
    .private_segment_fixed_size: 0
    .sgpr_count:     36
    .sgpr_spill_count: 0
    .symbol:         fft_rtc_back_len1280_factors_16_5_16_wgs_80_tpt_80_halfLds_dp_op_CI_CI_sbrr_dirReg.kd
    .uniform_work_group_size: 1
    .uses_dynamic_stack: false
    .vgpr_count:     142
    .vgpr_spill_count: 0
    .wavefront_size: 64
amdhsa.target:   amdgcn-amd-amdhsa--gfx90a
amdhsa.version:
  - 1
  - 2
...

	.end_amdgpu_metadata
